;; amdgpu-corpus repo=ROCm/rocFFT kind=compiled arch=gfx950 opt=O3
	.text
	.amdgcn_target "amdgcn-amd-amdhsa--gfx950"
	.amdhsa_code_object_version 6
	.protected	fft_rtc_fwd_len400_factors_4_10_10_wgs_120_tpt_40_halfLds_sp_op_CI_CI_unitstride_sbrr_R2C_dirReg ; -- Begin function fft_rtc_fwd_len400_factors_4_10_10_wgs_120_tpt_40_halfLds_sp_op_CI_CI_unitstride_sbrr_R2C_dirReg
	.globl	fft_rtc_fwd_len400_factors_4_10_10_wgs_120_tpt_40_halfLds_sp_op_CI_CI_unitstride_sbrr_R2C_dirReg
	.p2align	8
	.type	fft_rtc_fwd_len400_factors_4_10_10_wgs_120_tpt_40_halfLds_sp_op_CI_CI_unitstride_sbrr_R2C_dirReg,@function
fft_rtc_fwd_len400_factors_4_10_10_wgs_120_tpt_40_halfLds_sp_op_CI_CI_unitstride_sbrr_R2C_dirReg: ; @fft_rtc_fwd_len400_factors_4_10_10_wgs_120_tpt_40_halfLds_sp_op_CI_CI_unitstride_sbrr_R2C_dirReg
; %bb.0:
	s_load_dwordx4 s[4:7], s[0:1], 0x58
	s_load_dwordx4 s[8:11], s[0:1], 0x0
	;; [unrolled: 1-line block ×3, first 2 shown]
	v_mul_u32_u24_e32 v1, 0x667, v0
	v_lshrrev_b32_e32 v2, 16, v1
	v_mad_u64_u32 v[4:5], s[2:3], s2, 3, v[2:3]
	v_mov_b32_e32 v6, 0
	v_mov_b32_e32 v5, v6
	s_waitcnt lgkmcnt(0)
	v_cmp_lt_u64_e64 s[2:3], s[10:11], 2
	v_mov_b64_e32 v[2:3], 0
	s_and_b64 vcc, exec, s[2:3]
	v_mov_b64_e32 v[12:13], v[2:3]
	v_mov_b64_e32 v[14:15], v[4:5]
	s_cbranch_vccnz .LBB0_8
; %bb.1:
	s_load_dwordx2 s[2:3], s[0:1], 0x10
	s_add_u32 s16, s14, 8
	s_addc_u32 s17, s15, 0
	s_add_u32 s18, s12, 8
	s_addc_u32 s19, s13, 0
	s_waitcnt lgkmcnt(0)
	s_add_u32 s20, s2, 8
	v_mov_b64_e32 v[2:3], 0
	s_addc_u32 s21, s3, 0
	s_mov_b64 s[22:23], 1
	v_mov_b64_e32 v[12:13], v[2:3]
	v_mov_b64_e32 v[8:9], v[4:5]
.LBB0_2:                                ; =>This Inner Loop Header: Depth=1
	s_load_dwordx2 s[24:25], s[20:21], 0x0
                                        ; implicit-def: $vgpr14_vgpr15
	s_waitcnt lgkmcnt(0)
	v_or_b32_e32 v7, s25, v9
	v_cmp_ne_u64_e32 vcc, 0, v[6:7]
	s_and_saveexec_b64 s[2:3], vcc
	s_xor_b64 s[26:27], exec, s[2:3]
	s_cbranch_execz .LBB0_4
; %bb.3:                                ;   in Loop: Header=BB0_2 Depth=1
	v_cvt_f32_u32_e32 v1, s24
	v_cvt_f32_u32_e32 v5, s25
	s_sub_u32 s2, 0, s24
	s_subb_u32 s3, 0, s25
	v_fmac_f32_e32 v1, 0x4f800000, v5
	v_rcp_f32_e32 v1, v1
	s_nop 0
	v_mul_f32_e32 v1, 0x5f7ffffc, v1
	v_mul_f32_e32 v5, 0x2f800000, v1
	v_trunc_f32_e32 v5, v5
	v_fmac_f32_e32 v1, 0xcf800000, v5
	v_cvt_u32_f32_e32 v5, v5
	v_cvt_u32_f32_e32 v1, v1
	v_mul_lo_u32 v7, s2, v5
	v_mul_hi_u32 v10, s2, v1
	v_mul_lo_u32 v11, s3, v1
	v_add_u32_e32 v7, v10, v7
	v_mul_lo_u32 v16, s2, v1
	v_add_u32_e32 v7, v7, v11
	v_mul_hi_u32 v10, v1, v16
	v_mul_hi_u32 v15, v1, v7
	v_mul_lo_u32 v14, v1, v7
	v_mov_b32_e32 v11, v6
	v_lshl_add_u64 v[10:11], v[10:11], 0, v[14:15]
	v_mul_hi_u32 v15, v5, v16
	v_mul_lo_u32 v16, v5, v16
	v_add_co_u32_e32 v10, vcc, v10, v16
	v_mul_hi_u32 v14, v5, v7
	s_nop 0
	v_addc_co_u32_e32 v10, vcc, v11, v15, vcc
	v_mov_b32_e32 v11, v6
	s_nop 0
	v_addc_co_u32_e32 v15, vcc, 0, v14, vcc
	v_mul_lo_u32 v14, v5, v7
	v_lshl_add_u64 v[10:11], v[10:11], 0, v[14:15]
	v_add_co_u32_e32 v1, vcc, v1, v10
	v_mul_hi_u32 v10, s2, v1
	s_nop 0
	v_addc_co_u32_e32 v5, vcc, v5, v11, vcc
	v_mul_lo_u32 v7, s2, v5
	v_add_u32_e32 v7, v10, v7
	v_mul_lo_u32 v10, s3, v1
	v_add_u32_e32 v7, v7, v10
	v_mul_lo_u32 v14, s2, v1
	v_mul_hi_u32 v17, v5, v14
	v_mul_lo_u32 v18, v5, v14
	v_mul_hi_u32 v11, v1, v7
	;; [unrolled: 2-line block ×3, first 2 shown]
	v_mov_b32_e32 v15, v6
	v_lshl_add_u64 v[10:11], v[14:15], 0, v[10:11]
	v_add_co_u32_e32 v10, vcc, v10, v18
	v_mul_hi_u32 v16, v5, v7
	s_nop 0
	v_addc_co_u32_e32 v10, vcc, v11, v17, vcc
	v_mul_lo_u32 v14, v5, v7
	s_nop 0
	v_addc_co_u32_e32 v15, vcc, 0, v16, vcc
	v_mov_b32_e32 v11, v6
	v_lshl_add_u64 v[10:11], v[10:11], 0, v[14:15]
	v_add_co_u32_e32 v1, vcc, v1, v10
	v_mul_hi_u32 v14, v8, v1
	s_nop 0
	v_addc_co_u32_e32 v5, vcc, v5, v11, vcc
	v_mad_u64_u32 v[10:11], s[2:3], v8, v5, 0
	v_mov_b32_e32 v15, v6
	v_lshl_add_u64 v[10:11], v[14:15], 0, v[10:11]
	v_mad_u64_u32 v[16:17], s[2:3], v9, v1, 0
	v_add_co_u32_e32 v1, vcc, v10, v16
	v_mad_u64_u32 v[14:15], s[2:3], v9, v5, 0
	s_nop 0
	v_addc_co_u32_e32 v10, vcc, v11, v17, vcc
	v_mov_b32_e32 v11, v6
	s_nop 0
	v_addc_co_u32_e32 v15, vcc, 0, v15, vcc
	v_lshl_add_u64 v[10:11], v[10:11], 0, v[14:15]
	v_mul_lo_u32 v1, s25, v10
	v_mul_lo_u32 v5, s24, v11
	v_mad_u64_u32 v[14:15], s[2:3], s24, v10, 0
	v_add3_u32 v1, v15, v5, v1
	v_sub_u32_e32 v5, v9, v1
	v_mov_b32_e32 v7, s25
	v_sub_co_u32_e32 v18, vcc, v8, v14
	v_lshl_add_u64 v[16:17], v[10:11], 0, 1
	s_nop 0
	v_subb_co_u32_e64 v5, s[2:3], v5, v7, vcc
	v_subrev_co_u32_e64 v7, s[2:3], s24, v18
	v_subb_co_u32_e32 v1, vcc, v9, v1, vcc
	s_nop 0
	v_subbrev_co_u32_e64 v5, s[2:3], 0, v5, s[2:3]
	v_cmp_le_u32_e64 s[2:3], s25, v5
	v_cmp_le_u32_e32 vcc, s25, v1
	s_nop 0
	v_cndmask_b32_e64 v14, 0, -1, s[2:3]
	v_cmp_le_u32_e64 s[2:3], s24, v7
	s_nop 1
	v_cndmask_b32_e64 v7, 0, -1, s[2:3]
	v_cmp_eq_u32_e64 s[2:3], s25, v5
	s_nop 1
	v_cndmask_b32_e64 v5, v14, v7, s[2:3]
	v_lshl_add_u64 v[14:15], v[10:11], 0, 2
	v_cmp_ne_u32_e64 s[2:3], 0, v5
	v_cndmask_b32_e64 v7, 0, -1, vcc
	v_cmp_le_u32_e32 vcc, s24, v18
	v_cndmask_b32_e64 v5, v17, v15, s[2:3]
	s_nop 0
	v_cndmask_b32_e64 v15, 0, -1, vcc
	v_cmp_eq_u32_e32 vcc, s25, v1
	s_nop 1
	v_cndmask_b32_e32 v1, v7, v15, vcc
	v_cmp_ne_u32_e32 vcc, 0, v1
	v_cndmask_b32_e64 v1, v16, v14, s[2:3]
	s_nop 0
	v_cndmask_b32_e32 v15, v11, v5, vcc
	v_cndmask_b32_e32 v14, v10, v1, vcc
.LBB0_4:                                ;   in Loop: Header=BB0_2 Depth=1
	s_andn2_saveexec_b64 s[2:3], s[26:27]
	s_cbranch_execz .LBB0_6
; %bb.5:                                ;   in Loop: Header=BB0_2 Depth=1
	v_cvt_f32_u32_e32 v1, s24
	s_sub_i32 s26, 0, s24
	v_mov_b32_e32 v15, v6
	v_rcp_iflag_f32_e32 v1, v1
	s_nop 0
	v_mul_f32_e32 v1, 0x4f7ffffe, v1
	v_cvt_u32_f32_e32 v1, v1
	v_mul_lo_u32 v5, s26, v1
	v_mul_hi_u32 v5, v1, v5
	v_add_u32_e32 v1, v1, v5
	v_mul_hi_u32 v1, v8, v1
	v_mul_lo_u32 v5, v1, s24
	v_sub_u32_e32 v5, v8, v5
	v_add_u32_e32 v7, 1, v1
	v_subrev_u32_e32 v10, s24, v5
	v_cmp_le_u32_e32 vcc, s24, v5
	s_nop 1
	v_cndmask_b32_e32 v5, v5, v10, vcc
	v_cndmask_b32_e32 v1, v1, v7, vcc
	v_add_u32_e32 v7, 1, v1
	v_cmp_le_u32_e32 vcc, s24, v5
	s_nop 1
	v_cndmask_b32_e32 v14, v1, v7, vcc
.LBB0_6:                                ;   in Loop: Header=BB0_2 Depth=1
	s_or_b64 exec, exec, s[2:3]
	v_mad_u64_u32 v[10:11], s[2:3], v14, s24, 0
	s_load_dwordx2 s[2:3], s[18:19], 0x0
	s_add_u32 s22, s22, 1
	v_mul_lo_u32 v1, v15, s24
	v_mul_lo_u32 v5, v14, s25
	s_load_dwordx2 s[24:25], s[16:17], 0x0
	s_addc_u32 s23, s23, 0
	v_add3_u32 v1, v11, v5, v1
	v_sub_co_u32_e32 v5, vcc, v8, v10
	s_add_u32 s16, s16, 8
	s_nop 0
	v_subb_co_u32_e32 v1, vcc, v9, v1, vcc
	s_addc_u32 s17, s17, 0
	s_waitcnt lgkmcnt(0)
	v_mul_lo_u32 v7, s2, v1
	v_mul_lo_u32 v8, s3, v5
	v_mad_u64_u32 v[2:3], s[2:3], s2, v5, v[2:3]
	s_add_u32 s18, s18, 8
	v_add3_u32 v3, v8, v3, v7
	s_addc_u32 s19, s19, 0
	v_mov_b64_e32 v[8:9], s[10:11]
	v_mul_lo_u32 v1, s24, v1
	v_mul_lo_u32 v7, s25, v5
	v_mad_u64_u32 v[12:13], s[2:3], s24, v5, v[12:13]
	s_add_u32 s20, s20, 8
	v_cmp_ge_u64_e32 vcc, s[22:23], v[8:9]
	v_add3_u32 v13, v7, v13, v1
	s_addc_u32 s21, s21, 0
	s_cbranch_vccnz .LBB0_8
; %bb.7:                                ;   in Loop: Header=BB0_2 Depth=1
	v_mov_b64_e32 v[8:9], v[14:15]
	s_branch .LBB0_2
.LBB0_8:
	s_load_dwordx2 s[0:1], s[0:1], 0x28
	s_lshl_b64 s[10:11], s[10:11], 3
	s_add_u32 s2, s14, s10
	s_mov_b32 s14, 0xaaaaaaab
	v_mul_hi_u32 v1, v4, s14
	v_lshrrev_b32_e32 v1, 1, v1
	v_lshl_add_u32 v1, v1, 1, v1
	s_addc_u32 s3, s15, s11
	v_sub_u32_e32 v1, v4, v1
	s_waitcnt lgkmcnt(0)
	v_cmp_gt_u64_e32 vcc, s[0:1], v[14:15]
	v_cmp_le_u64_e64 s[0:1], s[0:1], v[14:15]
                                        ; implicit-def: $vgpr16
                                        ; implicit-def: $vgpr18
                                        ; implicit-def: $vgpr20
	s_and_saveexec_b64 s[14:15], s[0:1]
	s_xor_b64 s[0:1], exec, s[14:15]
; %bb.9:
	s_mov_b32 s14, 0x6666667
	v_mul_hi_u32 v2, v0, s14
	v_mul_u32_u24_e32 v2, 40, v2
	v_sub_u32_e32 v16, v0, v2
	v_add_u32_e32 v18, 40, v16
	v_add_u32_e32 v20, 0x50, v16
                                        ; implicit-def: $vgpr0
                                        ; implicit-def: $vgpr2_vgpr3
; %bb.10:
	s_or_saveexec_b64 s[0:1], s[0:1]
	v_mul_u32_u24_e32 v1, 0x191, v1
	v_lshlrev_b32_e32 v25, 3, v1
	s_xor_b64 exec, exec, s[0:1]
	s_cbranch_execz .LBB0_12
; %bb.11:
	s_add_u32 s10, s12, s10
	s_addc_u32 s11, s13, s11
	s_load_dwordx2 s[10:11], s[10:11], 0x0
	s_mov_b32 s12, 0x6666667
	s_waitcnt lgkmcnt(0)
	v_mul_lo_u32 v1, s11, v14
	v_mul_lo_u32 v6, s10, v15
	v_mad_u64_u32 v[4:5], s[10:11], s10, v14, 0
	v_add3_u32 v5, v5, v6, v1
	v_mul_hi_u32 v1, v0, s12
	v_mul_u32_u24_e32 v1, 40, v1
	v_sub_u32_e32 v16, v0, v1
	v_lshl_add_u64 v[0:1], v[4:5], 3, s[4:5]
	v_lshl_add_u64 v[0:1], v[2:3], 3, v[0:1]
	v_lshlrev_b32_e32 v2, 3, v16
	v_mov_b32_e32 v3, 0
	v_lshl_add_u64 v[0:1], v[0:1], 0, v[2:3]
	global_load_dwordx2 v[4:5], v[0:1], off
	global_load_dwordx2 v[6:7], v[0:1], off offset:320
	global_load_dwordx2 v[8:9], v[0:1], off offset:640
	;; [unrolled: 1-line block ×9, first 2 shown]
	v_add_u32_e32 v18, 40, v16
	v_add_u32_e32 v20, 0x50, v16
	v_add3_u32 v0, 0, v25, v2
	v_add_u32_e32 v1, 0x400, v0
	v_add_u32_e32 v2, 0x800, v0
	s_waitcnt vmcnt(8)
	ds_write2_b64 v0, v[4:5], v[6:7] offset1:40
	s_waitcnt vmcnt(6)
	ds_write2_b64 v0, v[8:9], v[10:11] offset0:80 offset1:120
	s_waitcnt vmcnt(4)
	ds_write2_b64 v0, v[22:23], v[26:27] offset0:160 offset1:200
	;; [unrolled: 2-line block ×4, first 2 shown]
.LBB0_12:
	s_or_b64 exec, exec, s[0:1]
	v_lshlrev_b32_e32 v17, 3, v16
	v_add3_u32 v19, 0, v17, v25
	v_add_u32_e32 v21, 0x400, v19
	s_load_dwordx2 s[2:3], s[2:3], 0x0
	s_waitcnt lgkmcnt(0)
	s_barrier
	ds_read2_b64 v[0:3], v19 offset0:40 offset1:80
	ds_read2_b64 v[4:7], v19 offset0:180 offset1:200
	;; [unrolled: 1-line block ×3, first 2 shown]
	v_add_u32_e32 v22, 0, v25
	v_add_u32_e32 v24, 0x800, v19
	;; [unrolled: 1-line block ×3, first 2 shown]
	ds_read2_b64 v[28:31], v19 offset0:100 offset1:140
	s_waitcnt lgkmcnt(1)
	v_pk_add_f32 v[8:9], v[0:1], v[8:9] neg_lo:[0,1] neg_hi:[0,1]
	ds_read2_b64 v[32:35], v24 offset0:44 offset1:84
	v_pk_fma_f32 v[36:37], v[0:1], 2.0, v[8:9] op_sel_hi:[1,0,1] neg_lo:[0,0,1] neg_hi:[0,0,1]
	ds_read_b64 v[0:1], v19 offset:3040
	ds_read_b64 v[38:39], v23
	v_mad_u32_u24 v27, v16, 24, v19
	s_waitcnt lgkmcnt(0)
	v_pk_add_f32 v[32:33], v[28:29], v[32:33] neg_lo:[0,1] neg_hi:[0,1]
	v_pk_add_f32 v[34:35], v[30:31], v[34:35] neg_lo:[0,1] neg_hi:[0,1]
	;; [unrolled: 1-line block ×3, first 2 shown]
	v_pk_fma_f32 v[28:29], v[28:29], 2.0, v[32:33] op_sel_hi:[1,0,1] neg_lo:[0,0,1] neg_hi:[0,0,1]
	v_pk_fma_f32 v[38:39], v[38:39], 2.0, v[6:7] op_sel_hi:[1,0,1] neg_lo:[0,0,1] neg_hi:[0,0,1]
	v_pk_add_f32 v[40:41], v[6:7], v[32:33] op_sel:[0,1] op_sel_hi:[1,0] neg_lo:[0,1] neg_hi:[0,1]
	v_pk_add_f32 v[32:33], v[6:7], v[32:33] op_sel:[0,1] op_sel_hi:[1,0]
	v_pk_add_f32 v[28:29], v[38:39], v[28:29] neg_lo:[0,1] neg_hi:[0,1]
	v_mov_b32_e32 v41, v33
	v_pk_fma_f32 v[38:39], v[38:39], 2.0, v[28:29] op_sel_hi:[1,0,1] neg_lo:[0,0,1] neg_hi:[0,0,1]
	v_pk_fma_f32 v[6:7], v[6:7], 2.0, v[40:41] op_sel_hi:[1,0,1] neg_lo:[0,0,1] neg_hi:[0,0,1]
	v_pk_fma_f32 v[30:31], v[30:31], 2.0, v[34:35] op_sel_hi:[1,0,1] neg_lo:[0,0,1] neg_hi:[0,0,1]
	s_barrier
	ds_write2_b64 v27, v[38:39], v[6:7] offset1:1
	ds_write2_b64 v27, v[28:29], v[40:41] offset0:2 offset1:3
	v_pk_add_f32 v[6:7], v[8:9], v[34:35] op_sel:[0,1] op_sel_hi:[1,0] neg_lo:[0,1] neg_hi:[0,1]
	v_pk_add_f32 v[28:29], v[8:9], v[34:35] op_sel:[0,1] op_sel_hi:[1,0]
	v_lshl_add_u32 v26, v18, 5, 0
	v_pk_add_f32 v[30:31], v[36:37], v[30:31] neg_lo:[0,1] neg_hi:[0,1]
	v_mov_b32_e32 v7, v29
	v_add_u32_e32 v42, v26, v25
	v_pk_fma_f32 v[36:37], v[36:37], 2.0, v[30:31] op_sel_hi:[1,0,1] neg_lo:[0,0,1] neg_hi:[0,0,1]
	v_pk_fma_f32 v[8:9], v[8:9], 2.0, v[6:7] op_sel_hi:[1,0,1] neg_lo:[0,0,1] neg_hi:[0,0,1]
	v_cmp_gt_u32_e64 s[0:1], 20, v16
	ds_write2_b64 v42, v[36:37], v[8:9] offset1:1
	ds_write2_b64 v42, v[30:31], v[6:7] offset0:2 offset1:3
	s_and_saveexec_b64 s[4:5], s[0:1]
	s_cbranch_execz .LBB0_14
; %bb.13:
	v_pk_add_f32 v[6:7], v[2:3], v[10:11] neg_lo:[0,1] neg_hi:[0,1]
	v_pk_add_f32 v[0:1], v[4:5], v[0:1] neg_lo:[0,1] neg_hi:[0,1]
	v_lshlrev_b32_e32 v8, 5, v20
	v_add3_u32 v10, 0, v8, v25
	v_pk_fma_f32 v[2:3], v[2:3], 2.0, v[6:7] op_sel_hi:[1,0,1] neg_lo:[0,0,1] neg_hi:[0,0,1]
	v_pk_fma_f32 v[4:5], v[4:5], 2.0, v[0:1] op_sel_hi:[1,0,1] neg_lo:[0,0,1] neg_hi:[0,0,1]
	v_pk_add_f32 v[8:9], v[6:7], v[0:1] op_sel:[0,1] op_sel_hi:[1,0] neg_lo:[0,1] neg_hi:[0,1]
	v_pk_add_f32 v[0:1], v[6:7], v[0:1] op_sel:[0,1] op_sel_hi:[1,0]
	v_pk_add_f32 v[4:5], v[2:3], v[4:5] neg_lo:[0,1] neg_hi:[0,1]
	v_mov_b32_e32 v9, v1
	v_pk_fma_f32 v[2:3], v[2:3], 2.0, v[4:5] op_sel_hi:[1,0,1] neg_lo:[0,0,1] neg_hi:[0,0,1]
	v_pk_fma_f32 v[6:7], v[6:7], 2.0, v[8:9] op_sel_hi:[1,0,1] neg_lo:[0,0,1] neg_hi:[0,0,1]
	ds_write2_b64 v10, v[2:3], v[6:7] offset1:1
	ds_write2_b64 v10, v[4:5], v[8:9] offset0:2 offset1:3
.LBB0_14:
	s_or_b64 exec, exec, s[4:5]
	v_and_b32_e32 v60, 3, v16
	v_mul_u32_u24_e32 v0, 9, v60
	v_lshlrev_b32_e32 v27, 3, v0
	s_waitcnt lgkmcnt(0)
	s_barrier
	global_load_dwordx4 v[0:3], v27, s[8:9] offset:16
	global_load_dwordx4 v[4:7], v27, s[8:9]
	global_load_dwordx4 v[8:11], v27, s[8:9] offset:32
	global_load_dwordx2 v[44:45], v27, s[8:9] offset:64
	global_load_dwordx4 v[28:31], v27, s[8:9] offset:48
	v_mul_i32_i24_e32 v27, 0xffffffe8, v18
	v_lshlrev_b32_e32 v48, 3, v20
	ds_read2_b64 v[32:35], v19 offset0:120 offset1:160
	ds_read2_b64 v[36:39], v19 offset0:200 offset1:240
	ds_read_b64 v[46:47], v23
	ds_read2_b64 v[40:43], v24 offset0:24 offset1:64
	v_add3_u32 v66, v26, v27, v25
	v_add3_u32 v67, 0, v48, v25
	ds_read_b64 v[26:27], v67
	ds_read_b64 v[54:55], v66
	s_mov_b32 s4, 0x3f737871
	s_mov_b32 s10, 0x3f167918
	;; [unrolled: 1-line block ×8, first 2 shown]
	s_waitcnt vmcnt(4) lgkmcnt(5)
	v_pk_mul_f32 v[48:49], v[0:1], v[32:33] op_sel:[0,1]
	v_pk_mul_f32 v[50:51], v[2:3], v[34:35] op_sel:[0,1]
	v_pk_fma_f32 v[52:53], v[0:1], v[32:33], v[48:49] op_sel:[0,0,1] op_sel_hi:[1,1,0] neg_lo:[0,0,1] neg_hi:[0,0,1]
	v_pk_fma_f32 v[0:1], v[0:1], v[32:33], v[48:49] op_sel:[0,0,1] op_sel_hi:[1,0,0]
	v_pk_fma_f32 v[32:33], v[2:3], v[34:35], v[50:51] op_sel:[0,0,1] op_sel_hi:[1,1,0] neg_lo:[0,0,1] neg_hi:[0,0,1]
	v_pk_fma_f32 v[2:3], v[2:3], v[34:35], v[50:51] op_sel:[0,0,1] op_sel_hi:[1,0,0]
	ds_read_b64 v[34:35], v19 offset:2880
	s_waitcnt vmcnt(3) lgkmcnt(1)
	v_pk_mul_f32 v[48:49], v[4:5], v[54:55] op_sel:[0,1]
	v_pk_mul_f32 v[50:51], v[6:7], v[26:27] op_sel:[0,1]
	v_pk_fma_f32 v[56:57], v[4:5], v[54:55], v[48:49] op_sel:[0,0,1] op_sel_hi:[1,1,0] neg_lo:[0,0,1] neg_hi:[0,0,1]
	v_pk_fma_f32 v[4:5], v[4:5], v[54:55], v[48:49] op_sel:[0,0,1] op_sel_hi:[1,0,0]
	v_pk_fma_f32 v[48:49], v[6:7], v[26:27], v[50:51] op_sel:[0,0,1] op_sel_hi:[1,1,0] neg_lo:[0,0,1] neg_hi:[0,0,1]
	v_pk_fma_f32 v[6:7], v[6:7], v[26:27], v[50:51] op_sel:[0,0,1] op_sel_hi:[1,0,0]
	s_waitcnt vmcnt(1) lgkmcnt(0)
	v_pk_mul_f32 v[50:51], v[34:35], v[44:45] op_sel:[0,1]
	v_pk_mul_f32 v[26:27], v[8:9], v[36:37] op_sel:[0,1]
	v_pk_fma_f32 v[54:55], v[34:35], v[44:45], v[50:51] op_sel:[0,0,1] op_sel_hi:[1,1,0] neg_lo:[0,0,1] neg_hi:[0,0,1]
	v_pk_fma_f32 v[34:35], v[34:35], v[44:45], v[50:51] op_sel:[0,0,1] op_sel_hi:[1,0,0]
	v_mov_b32_e32 v0, v11
	s_waitcnt vmcnt(0)
	v_pk_mul_f32 v[44:45], v[40:41], v[28:29] op_sel:[0,1]
	v_mov_b32_e32 v2, v31
	v_mov_b32_e32 v57, v5
	;; [unrolled: 1-line block ×3, first 2 shown]
	v_pk_fma_f32 v[4:5], v[8:9], v[36:37], v[26:27] op_sel:[0,0,1] op_sel_hi:[1,1,0] neg_lo:[0,0,1] neg_hi:[0,0,1]
	v_pk_fma_f32 v[6:7], v[8:9], v[36:37], v[26:27] op_sel:[0,0,1] op_sel_hi:[1,0,0]
	v_pk_mul_f32 v[8:9], v[38:39], v[0:1] op_sel_hi:[1,0]
	v_mov_b32_e32 v53, v1
	v_pk_fma_f32 v[0:1], v[40:41], v[28:29], v[44:45] op_sel:[0,0,1] op_sel_hi:[1,1,0] neg_lo:[0,0,1] neg_hi:[0,0,1]
	v_pk_fma_f32 v[26:27], v[40:41], v[28:29], v[44:45] op_sel:[0,0,1] op_sel_hi:[1,0,0]
	v_pk_mul_f32 v[28:29], v[42:43], v[2:3] op_sel_hi:[1,0]
	v_mov_b32_e32 v33, v3
	v_mov_b32_e32 v5, v7
	v_pk_fma_f32 v[2:3], v[38:39], v[10:11], v[8:9] op_sel:[0,0,1] op_sel_hi:[1,1,0] neg_lo:[0,0,1] neg_hi:[0,0,1]
	v_pk_fma_f32 v[6:7], v[38:39], v[10:11], v[8:9] op_sel:[0,0,1] op_sel_hi:[1,0,0]
	v_mov_b32_e32 v1, v27
	v_pk_fma_f32 v[8:9], v[42:43], v[30:31], v[28:29] op_sel:[0,0,1] op_sel_hi:[1,1,0] neg_lo:[0,0,1] neg_hi:[0,0,1]
	v_pk_fma_f32 v[10:11], v[42:43], v[30:31], v[28:29] op_sel:[0,0,1] op_sel_hi:[1,0,0]
	v_mov_b32_e32 v55, v35
	v_mov_b32_e32 v3, v7
	;; [unrolled: 1-line block ×3, first 2 shown]
	v_pk_add_f32 v[10:11], v[4:5], v[0:1]
	v_pk_add_f32 v[26:27], v[52:53], v[54:55] neg_lo:[0,1] neg_hi:[0,1]
	v_pk_add_f32 v[6:7], v[48:49], v[32:33] neg_lo:[0,1] neg_hi:[0,1]
	;; [unrolled: 1-line block ×5, first 2 shown]
	v_pk_add_f32 v[36:37], v[32:33], v[2:3]
	v_pk_add_f32 v[38:39], v[48:49], v[8:9] neg_lo:[0,1] neg_hi:[0,1]
	v_pk_add_f32 v[42:43], v[8:9], v[2:3] neg_lo:[0,1] neg_hi:[0,1]
	v_pk_fma_f32 v[10:11], v[10:11], 0.5, v[56:57] op_sel_hi:[1,0,1] neg_lo:[1,0,0] neg_hi:[1,0,0]
	v_pk_mul_f32 v[44:45], v[26:27], s[4:5] op_sel_hi:[1,0]
	v_pk_add_f32 v[40:41], v[32:33], v[2:3] neg_lo:[0,1] neg_hi:[0,1]
	v_pk_mul_f32 v[50:51], v[28:29], s[10:11] op_sel_hi:[1,0]
	v_pk_add_f32 v[30:31], v[30:31], v[34:35]
	v_pk_fma_f32 v[34:35], v[36:37], 0.5, v[46:47] op_sel_hi:[1,0,1] neg_lo:[1,0,0] neg_hi:[1,0,0]
	v_pk_mul_f32 v[36:37], v[38:39], s[4:5] op_sel_hi:[1,0]
	v_pk_add_f32 v[6:7], v[6:7], v[42:43]
	v_pk_add_f32 v[42:43], v[10:11], v[44:45] op_sel:[0,1] op_sel_hi:[1,0]
	v_pk_add_f32 v[10:11], v[10:11], v[44:45] op_sel:[0,1] op_sel_hi:[1,0] neg_lo:[0,1] neg_hi:[0,1]
	v_pk_add_f32 v[44:45], v[34:35], v[36:37] op_sel:[0,1] op_sel_hi:[1,0]
	v_pk_add_f32 v[34:35], v[34:35], v[36:37] op_sel:[0,1] op_sel_hi:[1,0] neg_lo:[0,1] neg_hi:[0,1]
	v_pk_mul_f32 v[36:37], v[40:41], s[10:11] op_sel_hi:[1,0]
	v_pk_add_f32 v[10:11], v[10:11], v[50:51] op_sel:[0,1] op_sel_hi:[1,0] neg_lo:[0,1] neg_hi:[0,1]
	v_pk_add_f32 v[42:43], v[42:43], v[50:51] op_sel:[0,1] op_sel_hi:[1,0]
	v_pk_add_f32 v[34:35], v[34:35], v[36:37] op_sel:[0,1] op_sel_hi:[1,0] neg_lo:[0,1] neg_hi:[0,1]
	v_pk_add_f32 v[36:37], v[44:45], v[36:37] op_sel:[0,1] op_sel_hi:[1,0]
	v_mov_b32_e32 v44, v42
	v_mov_b32_e32 v45, v11
	v_pk_fma_f32 v[44:45], v[30:31], s[0:1], v[44:45] op_sel_hi:[1,0,1]
	v_lshrrev_b32_e32 v11, 2, v16
	v_pk_mul_f32 v[50:51], v[44:45], s[10:11] op_sel_hi:[1,0]
	v_mul_u32_u24_e32 v11, 40, v11
	v_pk_fma_f32 v[58:59], v[44:45], s[12:13], v[50:51] op_sel:[0,0,1] op_sel_hi:[1,0,0]
	v_pk_fma_f32 v[44:45], v[44:45], s[12:13], v[50:51] op_sel:[0,0,1] op_sel_hi:[1,0,0] neg_lo:[0,0,1] neg_hi:[0,0,1]
	v_pk_add_f32 v[50:51], v[56:57], v[52:53]
	v_mov_b32_e32 v59, v45
	v_pk_add_f32 v[44:45], v[46:47], v[48:49]
	v_pk_add_f32 v[50:51], v[50:51], v[4:5]
	;; [unrolled: 1-line block ×3, first 2 shown]
	v_or_b32_e32 v11, v11, v60
	v_pk_add_f32 v[44:45], v[44:45], v[2:3]
	v_pk_add_f32 v[50:51], v[50:51], v[0:1]
	v_mov_b32_e32 v60, v36
	v_mov_b32_e32 v61, v35
	v_lshlrev_b32_e32 v11, 3, v11
	v_pk_add_f32 v[44:45], v[44:45], v[8:9]
	v_pk_add_f32 v[50:51], v[50:51], v[54:55]
	v_pk_fma_f32 v[60:61], v[6:7], s[0:1], v[60:61] op_sel_hi:[1,0,1]
	v_add3_u32 v25, 0, v11, v25
	v_pk_add_f32 v[62:63], v[44:45], v[50:51]
	v_pk_add_f32 v[64:65], v[60:61], v[58:59]
	s_barrier
	ds_write2_b64 v25, v[62:63], v[64:65] offset1:4
	v_pk_add_f32 v[62:63], v[48:49], v[8:9]
	v_pk_add_f32 v[2:3], v[2:3], v[8:9] neg_lo:[0,1] neg_hi:[0,1]
	v_pk_add_f32 v[8:9], v[52:53], v[54:55]
	v_pk_add_f32 v[4:5], v[4:5], v[52:53] neg_lo:[0,1] neg_hi:[0,1]
	v_pk_fma_f32 v[8:9], v[8:9], 0.5, v[56:57] op_sel_hi:[1,0,1] neg_lo:[1,0,0] neg_hi:[1,0,0]
	v_pk_add_f32 v[0:1], v[0:1], v[54:55] neg_lo:[0,1] neg_hi:[0,1]
	v_pk_mul_f32 v[28:29], v[28:29], s[4:5] op_sel_hi:[1,0]
	v_pk_add_f32 v[0:1], v[4:5], v[0:1]
	v_pk_mul_f32 v[4:5], v[40:41], s[4:5] op_sel_hi:[1,0]
	v_pk_mul_f32 v[26:27], v[26:27], s[10:11] op_sel_hi:[1,0]
	v_pk_add_f32 v[40:41], v[8:9], v[28:29] op_sel:[0,1] op_sel_hi:[1,0] neg_lo:[0,1] neg_hi:[0,1]
	v_pk_add_f32 v[8:9], v[8:9], v[28:29] op_sel:[0,1] op_sel_hi:[1,0]
	v_pk_fma_f32 v[46:47], v[62:63], 0.5, v[46:47] op_sel_hi:[1,0,1] neg_lo:[1,0,0] neg_hi:[1,0,0]
	v_pk_add_f32 v[32:33], v[32:33], v[48:49] neg_lo:[0,1] neg_hi:[0,1]
	v_pk_add_f32 v[8:9], v[8:9], v[26:27] op_sel:[0,1] op_sel_hi:[1,0] neg_lo:[0,1] neg_hi:[0,1]
	v_pk_add_f32 v[26:27], v[40:41], v[26:27] op_sel:[0,1] op_sel_hi:[1,0]
	v_pk_add_f32 v[2:3], v[32:33], v[2:3]
	v_pk_mul_f32 v[32:33], v[38:39], s[10:11] op_sel_hi:[1,0]
	v_pk_add_f32 v[38:39], v[46:47], v[4:5] op_sel:[0,1] op_sel_hi:[1,0] neg_lo:[0,1] neg_hi:[0,1]
	v_pk_add_f32 v[4:5], v[46:47], v[4:5] op_sel:[0,1] op_sel_hi:[1,0]
	v_mov_b32_e32 v28, v26
	v_mov_b32_e32 v29, v9
	v_pk_add_f32 v[4:5], v[4:5], v[32:33] op_sel:[0,1] op_sel_hi:[1,0] neg_lo:[0,1] neg_hi:[0,1]
	v_pk_add_f32 v[32:33], v[38:39], v[32:33] op_sel:[0,1] op_sel_hi:[1,0]
	v_pk_fma_f32 v[28:29], v[0:1], s[0:1], v[28:29] op_sel_hi:[1,0,1]
	v_mov_b32_e32 v9, v27
	v_mov_b32_e32 v38, v32
	;; [unrolled: 1-line block ×3, first 2 shown]
	v_pk_mul_f32 v[40:41], v[28:29], s[4:5] op_sel_hi:[1,0]
	v_mov_b32_e32 v5, v33
	v_pk_fma_f32 v[0:1], v[0:1], s[0:1], v[8:9] op_sel_hi:[1,0,1]
	v_pk_fma_f32 v[38:39], v[2:3], s[0:1], v[38:39] op_sel_hi:[1,0,1]
	v_pk_fma_f32 v[46:47], v[28:29], s[0:1], v[40:41] op_sel:[0,0,1] op_sel_hi:[1,0,0]
	v_pk_fma_f32 v[28:29], v[28:29], s[0:1], v[40:41] op_sel:[0,0,1] op_sel_hi:[1,0,0] neg_lo:[0,0,1] neg_hi:[0,0,1]
	v_pk_fma_f32 v[2:3], v[2:3], s[0:1], v[4:5] op_sel_hi:[1,0,1]
	v_pk_mul_f32 v[4:5], v[0:1], s[0:1] op_sel_hi:[1,0]
	v_mov_b32_e32 v47, v29
	v_pk_fma_f32 v[0:1], v[0:1], s[14:15], v[4:5] op_sel:[0,0,1] op_sel_hi:[1,1,0] neg_lo:[0,0,1] neg_hi:[0,0,1]
	v_pk_add_f32 v[28:29], v[38:39], v[46:47]
	v_pk_add_f32 v[4:5], v[2:3], v[0:1] op_sel:[0,1] op_sel_hi:[1,0]
	v_mov_b32_e32 v35, v37
	v_mov_b32_e32 v11, v43
	ds_write2_b64 v25, v[28:29], v[4:5] offset0:8 offset1:12
	v_pk_fma_f32 v[4:5], v[6:7], s[0:1], v[34:35] op_sel_hi:[1,0,1]
	v_pk_fma_f32 v[6:7], v[30:31], s[0:1], v[10:11] op_sel_hi:[1,0,1]
	v_pk_add_f32 v[10:11], v[44:45], v[50:51] neg_lo:[0,1] neg_hi:[0,1]
	v_pk_mul_f32 v[8:9], v[6:7], s[12:13] op_sel_hi:[1,0]
	v_pk_add_f32 v[0:1], v[2:3], v[0:1] op_sel:[0,1] op_sel_hi:[1,0] neg_lo:[0,1] neg_hi:[0,1]
	v_pk_fma_f32 v[6:7], v[6:7], s[16:17], v[8:9] op_sel:[0,0,1] op_sel_hi:[1,1,0] neg_lo:[0,0,1] neg_hi:[0,0,1]
	s_nop 0
	v_pk_add_f32 v[8:9], v[4:5], v[6:7] op_sel:[0,1] op_sel_hi:[1,0]
	v_pk_add_f32 v[2:3], v[4:5], v[6:7] op_sel:[0,1] op_sel_hi:[1,0] neg_lo:[0,1] neg_hi:[0,1]
	ds_write2_b64 v25, v[8:9], v[10:11] offset0:16 offset1:20
	v_pk_add_f32 v[8:9], v[60:61], v[58:59] neg_lo:[0,1] neg_hi:[0,1]
	v_pk_add_f32 v[10:11], v[38:39], v[46:47] neg_lo:[0,1] neg_hi:[0,1]
	ds_write2_b64 v25, v[0:1], v[2:3] offset0:32 offset1:36
	v_mul_u32_u24_e32 v0, 9, v16
	ds_write2_b64 v25, v[8:9], v[10:11] offset0:24 offset1:28
	v_lshlrev_b32_e32 v25, 3, v0
	s_waitcnt lgkmcnt(0)
	s_barrier
	global_load_dwordx4 v[0:3], v25, s[8:9] offset:288
	global_load_dwordx4 v[4:7], v25, s[8:9] offset:304
	;; [unrolled: 1-line block ×4, first 2 shown]
	global_load_dwordx2 v[42:43], v25, s[8:9] offset:352
	ds_read_b64 v[44:45], v67
	ds_read2_b64 v[30:33], v19 offset0:120 offset1:160
	ds_read_b64 v[46:47], v66
	ds_read2_b64 v[34:37], v19 offset0:200 offset1:240
	;; [unrolled: 2-line block ×3, first 2 shown]
	ds_read_b64 v[50:51], v19 offset:2880
	s_waitcnt lgkmcnt(0)
	s_barrier
	s_waitcnt vmcnt(4)
	v_pk_mul_f32 v[52:53], v[0:1], v[46:47] op_sel:[0,1]
	s_nop 0
	v_pk_fma_f32 v[54:55], v[0:1], v[46:47], v[52:53] op_sel:[0,0,1] op_sel_hi:[1,1,0] neg_lo:[0,0,1] neg_hi:[0,0,1]
	v_pk_fma_f32 v[0:1], v[0:1], v[46:47], v[52:53] op_sel:[0,0,1] op_sel_hi:[1,0,0]
	s_nop 0
	v_mov_b32_e32 v55, v1
	v_pk_mul_f32 v[0:1], v[2:3], v[44:45] op_sel:[0,1]
	s_nop 0
	v_pk_fma_f32 v[46:47], v[2:3], v[44:45], v[0:1] op_sel:[0,0,1] op_sel_hi:[1,1,0] neg_lo:[0,0,1] neg_hi:[0,0,1]
	v_pk_fma_f32 v[0:1], v[2:3], v[44:45], v[0:1] op_sel:[0,0,1] op_sel_hi:[1,0,0]
	s_nop 0
	v_mov_b32_e32 v47, v1
	s_waitcnt vmcnt(3)
	v_pk_mul_f32 v[0:1], v[4:5], v[30:31] op_sel:[0,1]
	s_nop 0
	v_pk_fma_f32 v[2:3], v[4:5], v[30:31], v[0:1] op_sel:[0,0,1] op_sel_hi:[1,1,0] neg_lo:[0,0,1] neg_hi:[0,0,1]
	v_pk_fma_f32 v[0:1], v[4:5], v[30:31], v[0:1] op_sel:[0,0,1] op_sel_hi:[1,0,0]
	s_nop 0
	v_mov_b32_e32 v3, v1
	v_pk_mul_f32 v[0:1], v[6:7], v[32:33] op_sel:[0,1]
	s_nop 0
	v_pk_fma_f32 v[4:5], v[6:7], v[32:33], v[0:1] op_sel:[0,0,1] op_sel_hi:[1,1,0] neg_lo:[0,0,1] neg_hi:[0,0,1]
	v_pk_fma_f32 v[0:1], v[6:7], v[32:33], v[0:1] op_sel:[0,0,1] op_sel_hi:[1,0,0]
	s_nop 0
	v_mov_b32_e32 v5, v1
	s_waitcnt vmcnt(2)
	v_pk_mul_f32 v[0:1], v[8:9], v[34:35] op_sel:[0,1]
	s_nop 0
	v_pk_fma_f32 v[6:7], v[8:9], v[34:35], v[0:1] op_sel:[0,0,1] op_sel_hi:[1,1,0] neg_lo:[0,0,1] neg_hi:[0,0,1]
	v_pk_fma_f32 v[0:1], v[8:9], v[34:35], v[0:1] op_sel:[0,0,1] op_sel_hi:[1,0,0]
	s_nop 0
	v_mov_b32_e32 v0, v11
	v_mov_b32_e32 v7, v1
	v_pk_mul_f32 v[0:1], v[36:37], v[0:1] op_sel_hi:[1,0]
	v_pk_add_f32 v[56:57], v[2:3], v[6:7] neg_lo:[0,1] neg_hi:[0,1]
	v_pk_fma_f32 v[8:9], v[36:37], v[10:11], v[0:1] op_sel:[0,0,1] op_sel_hi:[1,1,0] neg_lo:[0,0,1] neg_hi:[0,0,1]
	v_pk_fma_f32 v[0:1], v[36:37], v[10:11], v[0:1] op_sel:[0,0,1] op_sel_hi:[1,0,0]
	s_nop 0
	v_mov_b32_e32 v9, v1
	s_waitcnt vmcnt(1)
	v_pk_mul_f32 v[0:1], v[38:39], v[26:27] op_sel:[0,1]
	v_pk_add_f32 v[30:31], v[4:5], v[8:9]
	v_pk_fma_f32 v[10:11], v[38:39], v[26:27], v[0:1] op_sel:[0,0,1] op_sel_hi:[1,1,0] neg_lo:[0,0,1] neg_hi:[0,0,1]
	v_pk_fma_f32 v[0:1], v[38:39], v[26:27], v[0:1] op_sel:[0,0,1] op_sel_hi:[1,0,0]
	v_pk_fma_f32 v[30:31], v[30:31], 0.5, v[48:49] op_sel_hi:[1,0,1] neg_lo:[1,0,0] neg_hi:[1,0,0]
	v_mov_b32_e32 v0, v29
	v_mov_b32_e32 v11, v1
	v_pk_mul_f32 v[0:1], v[40:41], v[0:1] op_sel_hi:[1,0]
	v_pk_add_f32 v[36:37], v[4:5], v[8:9] neg_lo:[0,1] neg_hi:[0,1]
	v_pk_fma_f32 v[26:27], v[40:41], v[28:29], v[0:1] op_sel:[0,0,1] op_sel_hi:[1,1,0] neg_lo:[0,0,1] neg_hi:[0,0,1]
	v_pk_fma_f32 v[0:1], v[40:41], v[28:29], v[0:1] op_sel:[0,0,1] op_sel_hi:[1,0,0]
	v_pk_add_f32 v[40:41], v[46:47], v[4:5] neg_lo:[0,1] neg_hi:[0,1]
	v_mov_b32_e32 v27, v1
	s_waitcnt vmcnt(0)
	v_pk_mul_f32 v[0:1], v[50:51], v[42:43] op_sel:[0,1]
	v_pk_add_f32 v[32:33], v[46:47], v[26:27] neg_lo:[0,1] neg_hi:[0,1]
	v_pk_fma_f32 v[28:29], v[50:51], v[42:43], v[0:1] op_sel:[0,0,1] op_sel_hi:[1,1,0] neg_lo:[0,0,1] neg_hi:[0,0,1]
	v_pk_fma_f32 v[0:1], v[50:51], v[42:43], v[0:1] op_sel:[0,0,1] op_sel_hi:[1,0,0]
	v_pk_mul_f32 v[34:35], v[32:33], s[4:5] op_sel_hi:[1,0]
	v_pk_add_f32 v[42:43], v[26:27], v[8:9] neg_lo:[0,1] neg_hi:[0,1]
	v_mov_b32_e32 v29, v1
	v_pk_mul_f32 v[38:39], v[36:37], s[10:11] op_sel_hi:[1,0]
	v_pk_add_f32 v[40:41], v[40:41], v[42:43]
	v_pk_add_f32 v[42:43], v[30:31], v[34:35] op_sel:[0,1] op_sel_hi:[1,0]
	v_pk_add_f32 v[30:31], v[30:31], v[34:35] op_sel:[0,1] op_sel_hi:[1,0] neg_lo:[0,1] neg_hi:[0,1]
	v_pk_add_f32 v[34:35], v[42:43], v[38:39] op_sel:[0,1] op_sel_hi:[1,0]
	v_pk_add_f32 v[30:31], v[30:31], v[38:39] op_sel:[0,1] op_sel_hi:[1,0] neg_lo:[0,1] neg_hi:[0,1]
	v_pk_add_f32 v[38:39], v[6:7], v[10:11]
	v_pk_add_f32 v[42:43], v[2:3], v[28:29] neg_lo:[0,1] neg_hi:[0,1]
	v_pk_fma_f32 v[38:39], v[38:39], 0.5, v[54:55] op_sel_hi:[1,0,1] neg_lo:[1,0,0] neg_hi:[1,0,0]
	v_pk_mul_f32 v[44:45], v[42:43], s[4:5] op_sel_hi:[1,0]
	v_pk_add_f32 v[50:51], v[6:7], v[10:11] neg_lo:[0,1] neg_hi:[0,1]
	v_pk_add_f32 v[58:59], v[28:29], v[10:11] neg_lo:[0,1] neg_hi:[0,1]
	v_pk_mul_f32 v[52:53], v[50:51], s[10:11] op_sel_hi:[1,0]
	v_pk_add_f32 v[56:57], v[56:57], v[58:59]
	v_pk_add_f32 v[58:59], v[38:39], v[44:45] op_sel:[0,1] op_sel_hi:[1,0]
	v_pk_add_f32 v[38:39], v[38:39], v[44:45] op_sel:[0,1] op_sel_hi:[1,0] neg_lo:[0,1] neg_hi:[0,1]
	v_pk_add_f32 v[44:45], v[58:59], v[52:53] op_sel:[0,1] op_sel_hi:[1,0]
	v_pk_add_f32 v[38:39], v[38:39], v[52:53] op_sel:[0,1] op_sel_hi:[1,0] neg_lo:[0,1] neg_hi:[0,1]
	v_mov_b32_e32 v52, v44
	v_mov_b32_e32 v53, v39
	v_pk_fma_f32 v[52:53], v[56:57], s[0:1], v[52:53] op_sel_hi:[1,0,1]
	v_pk_add_f32 v[0:1], v[48:49], v[46:47]
	v_pk_mul_f32 v[58:59], v[52:53], s[10:11] op_sel_hi:[1,0]
	v_pk_add_f32 v[0:1], v[0:1], v[4:5]
	v_pk_fma_f32 v[60:61], v[52:53], s[12:13], v[58:59] op_sel:[0,0,1] op_sel_hi:[1,0,0]
	v_pk_fma_f32 v[52:53], v[52:53], s[12:13], v[58:59] op_sel:[0,0,1] op_sel_hi:[1,0,0] neg_lo:[0,0,1] neg_hi:[0,0,1]
	v_pk_add_f32 v[58:59], v[54:55], v[2:3]
	v_pk_add_f32 v[0:1], v[0:1], v[8:9]
	;; [unrolled: 1-line block ×3, first 2 shown]
	v_mov_b32_e32 v61, v53
	v_pk_add_f32 v[58:59], v[58:59], v[10:11]
	v_mov_b32_e32 v52, v34
	v_mov_b32_e32 v53, v31
	v_pk_add_f32 v[4:5], v[4:5], v[46:47] neg_lo:[0,1] neg_hi:[0,1]
	v_pk_add_f32 v[8:9], v[8:9], v[26:27] neg_lo:[0,1] neg_hi:[0,1]
	v_pk_add_f32 v[0:1], v[0:1], v[26:27]
	v_pk_add_f32 v[58:59], v[58:59], v[28:29]
	v_pk_fma_f32 v[52:53], v[40:41], s[0:1], v[52:53] op_sel_hi:[1,0,1]
	v_pk_add_f32 v[4:5], v[4:5], v[8:9]
	v_pk_add_f32 v[8:9], v[2:3], v[28:29]
	;; [unrolled: 1-line block ×4, first 2 shown]
	v_pk_fma_f32 v[8:9], v[8:9], 0.5, v[54:55] op_sel_hi:[1,0,1] neg_lo:[1,0,0] neg_hi:[1,0,0]
	v_pk_add_f32 v[2:3], v[6:7], v[2:3] neg_lo:[0,1] neg_hi:[0,1]
	v_pk_add_f32 v[6:7], v[10:11], v[28:29] neg_lo:[0,1] neg_hi:[0,1]
	v_pk_mul_f32 v[28:29], v[50:51], s[4:5] op_sel_hi:[1,0]
	ds_write2_b64 v19, v[62:63], v[64:65] offset1:40
	v_pk_add_f32 v[62:63], v[46:47], v[26:27]
	v_pk_add_f32 v[2:3], v[2:3], v[6:7]
	v_pk_mul_f32 v[6:7], v[36:37], s[4:5] op_sel_hi:[1,0]
	v_pk_mul_f32 v[10:11], v[32:33], s[10:11] op_sel_hi:[1,0]
	;; [unrolled: 1-line block ×3, first 2 shown]
	v_pk_add_f32 v[36:37], v[8:9], v[28:29] op_sel:[0,1] op_sel_hi:[1,0] neg_lo:[0,1] neg_hi:[0,1]
	v_pk_add_f32 v[8:9], v[8:9], v[28:29] op_sel:[0,1] op_sel_hi:[1,0]
	v_pk_fma_f32 v[48:49], v[62:63], 0.5, v[48:49] op_sel_hi:[1,0,1] neg_lo:[1,0,0] neg_hi:[1,0,0]
	v_pk_add_f32 v[8:9], v[8:9], v[32:33] op_sel:[0,1] op_sel_hi:[1,0] neg_lo:[0,1] neg_hi:[0,1]
	v_pk_add_f32 v[28:29], v[36:37], v[32:33] op_sel:[0,1] op_sel_hi:[1,0]
	v_pk_add_f32 v[26:27], v[48:49], v[6:7] op_sel:[0,1] op_sel_hi:[1,0] neg_lo:[0,1] neg_hi:[0,1]
	v_pk_add_f32 v[6:7], v[48:49], v[6:7] op_sel:[0,1] op_sel_hi:[1,0]
	v_mov_b32_e32 v32, v28
	v_mov_b32_e32 v33, v9
	v_pk_add_f32 v[6:7], v[6:7], v[10:11] op_sel:[0,1] op_sel_hi:[1,0] neg_lo:[0,1] neg_hi:[0,1]
	v_pk_add_f32 v[10:11], v[26:27], v[10:11] op_sel:[0,1] op_sel_hi:[1,0]
	v_pk_fma_f32 v[32:33], v[2:3], s[0:1], v[32:33] op_sel_hi:[1,0,1]
	v_mov_b32_e32 v9, v29
	v_mov_b32_e32 v26, v10
	;; [unrolled: 1-line block ×3, first 2 shown]
	v_pk_mul_f32 v[36:37], v[32:33], s[4:5] op_sel_hi:[1,0]
	v_mov_b32_e32 v7, v11
	v_pk_fma_f32 v[2:3], v[2:3], s[0:1], v[8:9] op_sel_hi:[1,0,1]
	v_pk_fma_f32 v[26:27], v[4:5], s[0:1], v[26:27] op_sel_hi:[1,0,1]
	v_pk_fma_f32 v[42:43], v[32:33], s[0:1], v[36:37] op_sel:[0,0,1] op_sel_hi:[1,0,0]
	v_pk_fma_f32 v[32:33], v[32:33], s[0:1], v[36:37] op_sel:[0,0,1] op_sel_hi:[1,0,0] neg_lo:[0,0,1] neg_hi:[0,0,1]
	v_pk_fma_f32 v[4:5], v[4:5], s[0:1], v[6:7] op_sel_hi:[1,0,1]
	v_pk_mul_f32 v[6:7], v[2:3], s[0:1] op_sel_hi:[1,0]
	v_mov_b32_e32 v39, v45
	v_mov_b32_e32 v43, v33
	v_pk_fma_f32 v[2:3], v[2:3], s[14:15], v[6:7] op_sel:[0,0,1] op_sel_hi:[1,1,0] neg_lo:[0,0,1] neg_hi:[0,0,1]
	v_pk_fma_f32 v[8:9], v[56:57], s[0:1], v[38:39] op_sel_hi:[1,0,1]
	v_pk_add_f32 v[32:33], v[26:27], v[42:43]
	v_pk_add_f32 v[6:7], v[4:5], v[2:3] op_sel:[0,1] op_sel_hi:[1,0]
	v_mov_b32_e32 v31, v35
	v_pk_mul_f32 v[10:11], v[8:9], s[12:13] op_sel_hi:[1,0]
	ds_write2_b64 v19, v[32:33], v[6:7] offset0:80 offset1:120
	v_pk_fma_f32 v[6:7], v[40:41], s[0:1], v[30:31] op_sel_hi:[1,0,1]
	v_pk_fma_f32 v[8:9], v[8:9], s[16:17], v[10:11] op_sel:[0,0,1] op_sel_hi:[1,1,0] neg_lo:[0,0,1] neg_hi:[0,0,1]
	v_pk_add_f32 v[0:1], v[0:1], v[58:59] neg_lo:[0,1] neg_hi:[0,1]
	v_pk_add_f32 v[10:11], v[6:7], v[8:9] op_sel:[0,1] op_sel_hi:[1,0]
	ds_write2_b64 v19, v[10:11], v[0:1] offset0:160 offset1:200
	v_pk_add_f32 v[0:1], v[52:53], v[60:61] neg_lo:[0,1] neg_hi:[0,1]
	v_pk_add_f32 v[10:11], v[26:27], v[42:43] neg_lo:[0,1] neg_hi:[0,1]
	ds_write2_b64 v21, v[0:1], v[10:11] offset0:112 offset1:152
	v_pk_add_f32 v[0:1], v[4:5], v[2:3] op_sel:[0,1] op_sel_hi:[1,0] neg_lo:[0,1] neg_hi:[0,1]
	v_pk_add_f32 v[2:3], v[6:7], v[8:9] op_sel:[0,1] op_sel_hi:[1,0] neg_lo:[0,1] neg_hi:[0,1]
	ds_write2_b64 v24, v[0:1], v[2:3] offset0:64 offset1:104
	s_waitcnt lgkmcnt(0)
	s_barrier
	ds_read_b64 v[6:7], v23
	v_sub_u32_e32 v8, v22, v17
	v_cmp_ne_u32_e64 s[0:1], 0, v16
                                        ; implicit-def: $vgpr1
                                        ; implicit-def: $vgpr2_vgpr3
                                        ; implicit-def: $vgpr4_vgpr5
	s_and_saveexec_b64 s[4:5], s[0:1]
	s_xor_b64 s[0:1], exec, s[4:5]
	s_cbranch_execz .LBB0_16
; %bb.15:
	v_mov_b32_e32 v17, 0
	v_lshl_add_u64 v[0:1], v[16:17], 3, s[8:9]
	global_load_dwordx2 v[2:3], v[0:1], off offset:3168
	ds_read_b64 v[0:1], v8 offset:3200
	v_mov_b32_e32 v5, 0.5
	v_mov_b32_e32 v10, v5
	s_waitcnt lgkmcnt(0)
	v_pk_add_f32 v[24:25], v[0:1], v[6:7]
	v_pk_add_f32 v[0:1], v[6:7], v[0:1] neg_lo:[0,1] neg_hi:[0,1]
	v_mov_b32_e32 v6, v25
	v_mov_b32_e32 v7, v0
	v_pk_mul_f32 v[6:7], v[6:7], 0.5 op_sel_hi:[1,0]
	s_waitcnt vmcnt(0)
	v_mov_b32_e32 v4, v3
	v_mov_b32_e32 v0, v7
	;; [unrolled: 1-line block ×4, first 2 shown]
	v_pk_mul_f32 v[0:1], v[4:5], v[0:1]
	v_pk_mul_f32 v[26:27], v[2:3], v[6:7] op_sel_hi:[0,1]
	v_pk_fma_f32 v[4:5], v[24:25], v[10:11], v[0:1]
	v_pk_fma_f32 v[10:11], v[24:25], v[10:11], v[0:1] neg_lo:[0,0,1] neg_hi:[0,0,1]
	v_pk_fma_f32 v[0:1], v[2:3], v[6:7], v[4:5] op_sel_hi:[0,1,1] neg_lo:[1,0,0] neg_hi:[1,0,0]
	v_pk_fma_f32 v[2:3], v[2:3], v[6:7], v[10:11] op_sel_hi:[0,1,1] neg_lo:[1,0,0] neg_hi:[1,0,0]
	v_add_f32_e32 v0, v4, v26
	v_mov_b64_e32 v[4:5], v[16:17]
                                        ; implicit-def: $vgpr6_vgpr7
.LBB0_16:
	s_andn2_saveexec_b64 s[0:1], s[0:1]
	s_cbranch_execz .LBB0_18
; %bb.17:
	ds_read_b32 v1, v22 offset:1604
	s_waitcnt lgkmcnt(1)
	v_mov_b32_e32 v2, v7
	v_pk_add_f32 v[2:3], v[6:7], v[2:3] neg_lo:[0,1] neg_hi:[0,1]
	v_add_f32_e32 v0, v7, v6
	v_mov_b32_e32 v3, 0
	s_waitcnt lgkmcnt(0)
	v_xor_b32_e32 v1, 0x80000000, v1
	ds_write_b32 v22, v1 offset:1604
	v_mov_b64_e32 v[4:5], 0
	v_mov_b32_e32 v1, v3
.LBB0_18:
	s_or_b64 exec, exec, s[0:1]
	v_mov_b32_e32 v19, 0
	s_waitcnt lgkmcnt(0)
	v_lshl_add_u64 v[6:7], v[18:19], 3, s[8:9]
	global_load_dwordx2 v[6:7], v[6:7], off offset:3168
	v_mov_b32_e32 v21, v19
	v_lshl_add_u64 v[10:11], v[20:21], 3, s[8:9]
	global_load_dwordx2 v[10:11], v[10:11], off offset:3168
	s_add_u32 s0, s8, 0xc60
	s_addc_u32 s1, s9, 0
	v_lshl_add_u64 v[4:5], v[4:5], 3, s[0:1]
	global_load_dwordx2 v[24:25], v[4:5], off offset:960
	global_load_dwordx2 v[26:27], v[4:5], off offset:1280
	ds_write_b64 v23, v[0:1]
	ds_write_b64 v8, v[2:3] offset:3200
	v_lshl_add_u32 v9, v18, 3, v22
	ds_read_b64 v[0:1], v9
	ds_read_b64 v[2:3], v8 offset:2880
	v_mov_b32_e32 v5, 0.5
	v_lshl_add_u32 v17, v20, 3, v22
	v_mov_b32_e32 v20, v5
	s_waitcnt lgkmcnt(0)
	v_pk_add_f32 v[28:29], v[0:1], v[2:3]
	v_pk_add_f32 v[0:1], v[0:1], v[2:3] neg_lo:[0,1] neg_hi:[0,1]
	v_mov_b32_e32 v2, v29
	v_mov_b32_e32 v3, v0
	v_pk_mul_f32 v[2:3], v[2:3], 0.5 op_sel_hi:[1,0]
	s_waitcnt vmcnt(3)
	v_mov_b32_e32 v21, v7
	v_mov_b32_e32 v29, v2
	;; [unrolled: 1-line block ×4, first 2 shown]
	v_pk_mul_f32 v[20:21], v[28:29], v[20:21]
	s_nop 0
	v_pk_fma_f32 v[28:29], v[4:5], v[0:1], v[20:21] neg_lo:[1,0,0] neg_hi:[1,0,0]
	v_pk_fma_f32 v[0:1], v[4:5], v[0:1], v[20:21]
	v_pk_fma_f32 v[20:21], v[6:7], v[2:3], v[28:29] op_sel_hi:[0,1,1] neg_lo:[1,0,0] neg_hi:[1,0,0]
	v_pk_fma_f32 v[28:29], v[6:7], v[2:3], v[0:1] op_sel_hi:[0,1,1]
	v_pk_fma_f32 v[0:1], v[6:7], v[2:3], v[0:1] op_sel_hi:[0,1,1] neg_lo:[1,0,0] neg_hi:[1,0,0]
	v_mov_b32_e32 v29, v1
	ds_write_b64 v9, v[28:29]
	ds_write_b64 v8, v[20:21] offset:2880
	ds_read_b64 v[0:1], v17
	ds_read_b64 v[2:3], v8 offset:2560
	v_mov_b32_e32 v6, v5
	s_waitcnt vmcnt(2)
	v_mov_b32_e32 v7, v11
	v_mov_b32_e32 v4, v11
	s_waitcnt lgkmcnt(0)
	v_pk_add_f32 v[20:21], v[0:1], v[2:3]
	v_pk_add_f32 v[0:1], v[0:1], v[2:3] neg_lo:[0,1] neg_hi:[0,1]
	v_mov_b32_e32 v2, v21
	v_mov_b32_e32 v3, v0
	v_pk_mul_f32 v[2:3], v[2:3], 0.5 op_sel_hi:[1,0]
	s_nop 0
	v_mov_b32_e32 v21, v2
	v_mov_b32_e32 v0, v3
	v_pk_mul_f32 v[6:7], v[20:21], v[6:7]
	s_nop 0
	v_pk_fma_f32 v[20:21], v[4:5], v[0:1], v[6:7] neg_lo:[1,0,0] neg_hi:[1,0,0]
	v_pk_fma_f32 v[0:1], v[4:5], v[0:1], v[6:7]
	v_pk_fma_f32 v[6:7], v[10:11], v[2:3], v[20:21] op_sel_hi:[0,1,1] neg_lo:[1,0,0] neg_hi:[1,0,0]
	v_pk_fma_f32 v[20:21], v[10:11], v[2:3], v[0:1] op_sel_hi:[0,1,1]
	v_pk_fma_f32 v[0:1], v[10:11], v[2:3], v[0:1] op_sel_hi:[0,1,1] neg_lo:[1,0,0] neg_hi:[1,0,0]
	v_mov_b32_e32 v21, v1
	ds_write_b64 v17, v[20:21]
	ds_write_b64 v8, v[6:7] offset:2560
	ds_read_b64 v[0:1], v23 offset:960
	ds_read_b64 v[2:3], v8 offset:2240
	v_mov_b32_e32 v6, v5
	s_waitcnt vmcnt(1)
	v_mov_b32_e32 v7, v25
	v_mov_b32_e32 v4, v25
	s_waitcnt lgkmcnt(0)
	v_pk_add_f32 v[10:11], v[0:1], v[2:3]
	v_pk_add_f32 v[0:1], v[0:1], v[2:3] neg_lo:[0,1] neg_hi:[0,1]
	v_mov_b32_e32 v2, v11
	v_mov_b32_e32 v3, v0
	v_pk_mul_f32 v[2:3], v[2:3], 0.5 op_sel_hi:[1,0]
	s_nop 0
	v_mov_b32_e32 v11, v2
	v_mov_b32_e32 v0, v3
	v_pk_mul_f32 v[6:7], v[10:11], v[6:7]
	s_nop 0
	v_pk_fma_f32 v[10:11], v[4:5], v[0:1], v[6:7] neg_lo:[1,0,0] neg_hi:[1,0,0]
	v_pk_fma_f32 v[0:1], v[4:5], v[0:1], v[6:7]
	v_pk_fma_f32 v[6:7], v[24:25], v[2:3], v[10:11] op_sel_hi:[0,1,1] neg_lo:[1,0,0] neg_hi:[1,0,0]
	v_pk_fma_f32 v[10:11], v[24:25], v[2:3], v[0:1] op_sel_hi:[0,1,1]
	v_pk_fma_f32 v[0:1], v[24:25], v[2:3], v[0:1] op_sel_hi:[0,1,1] neg_lo:[1,0,0] neg_hi:[1,0,0]
	v_mov_b32_e32 v11, v1
	ds_write_b64 v23, v[10:11] offset:960
	ds_write_b64 v8, v[6:7] offset:2240
	ds_read_b64 v[0:1], v23 offset:1280
	ds_read_b64 v[2:3], v8 offset:1920
	v_mov_b32_e32 v6, v5
	s_waitcnt vmcnt(0)
	v_mov_b32_e32 v7, v27
	v_mov_b32_e32 v4, v27
	s_waitcnt lgkmcnt(0)
	v_pk_add_f32 v[10:11], v[0:1], v[2:3]
	v_pk_add_f32 v[0:1], v[0:1], v[2:3] neg_lo:[0,1] neg_hi:[0,1]
	v_mov_b32_e32 v2, v11
	v_mov_b32_e32 v3, v0
	v_pk_mul_f32 v[2:3], v[2:3], 0.5 op_sel_hi:[1,0]
	s_nop 0
	v_mov_b32_e32 v11, v2
	v_mov_b32_e32 v0, v3
	v_pk_mul_f32 v[6:7], v[10:11], v[6:7]
	s_nop 0
	v_pk_fma_f32 v[10:11], v[4:5], v[0:1], v[6:7] neg_lo:[1,0,0] neg_hi:[1,0,0]
	v_pk_fma_f32 v[0:1], v[4:5], v[0:1], v[6:7]
	v_pk_fma_f32 v[4:5], v[26:27], v[2:3], v[10:11] op_sel_hi:[0,1,1] neg_lo:[1,0,0] neg_hi:[1,0,0]
	v_pk_fma_f32 v[6:7], v[26:27], v[2:3], v[0:1] op_sel_hi:[0,1,1]
	v_pk_fma_f32 v[0:1], v[26:27], v[2:3], v[0:1] op_sel_hi:[0,1,1] neg_lo:[1,0,0] neg_hi:[1,0,0]
	v_mov_b32_e32 v7, v1
	ds_write_b64 v23, v[6:7] offset:1280
	ds_write_b64 v8, v[4:5] offset:1920
	s_waitcnt lgkmcnt(0)
	s_barrier
	s_and_saveexec_b64 s[0:1], vcc
	s_cbranch_execz .LBB0_21
; %bb.19:
	v_mul_lo_u32 v2, s3, v14
	v_mul_lo_u32 v3, s2, v15
	v_mad_u64_u32 v[0:1], s[0:1], s2, v14, 0
	v_add3_u32 v1, v1, v3, v2
	v_lshl_add_u32 v2, v16, 3, v22
	ds_read2_b64 v[4:7], v2 offset1:40
	v_lshl_add_u64 v[0:1], v[0:1], 3, s[6:7]
	v_mov_b32_e32 v17, v19
	v_lshl_add_u64 v[0:1], v[12:13], 3, v[0:1]
	v_lshl_add_u64 v[8:9], v[16:17], 3, v[0:1]
	s_waitcnt lgkmcnt(0)
	global_store_dwordx2 v[8:9], v[4:5], off
	ds_read2_b64 v[8:11], v2 offset0:80 offset1:120
	v_add_u32_e32 v18, 40, v16
	v_lshl_add_u64 v[4:5], v[18:19], 3, v[0:1]
	v_add_u32_e32 v18, 0x50, v16
	global_store_dwordx2 v[4:5], v[6:7], off
	v_lshl_add_u64 v[4:5], v[18:19], 3, v[0:1]
	s_waitcnt lgkmcnt(0)
	global_store_dwordx2 v[4:5], v[8:9], off
	ds_read2_b64 v[4:7], v2 offset0:160 offset1:200
	v_add_u32_e32 v18, 0x78, v16
	v_lshl_add_u64 v[8:9], v[18:19], 3, v[0:1]
	v_add_u32_e32 v18, 0xa0, v16
	global_store_dwordx2 v[8:9], v[10:11], off
	v_lshl_add_u64 v[8:9], v[18:19], 3, v[0:1]
	v_add_u32_e32 v3, 0x400, v2
	s_waitcnt lgkmcnt(0)
	global_store_dwordx2 v[8:9], v[4:5], off
	ds_read2_b64 v[8:11], v3 offset0:112 offset1:152
	v_add_u32_e32 v18, 0xc8, v16
	v_lshl_add_u64 v[4:5], v[18:19], 3, v[0:1]
	v_add_u32_e32 v18, 0xf0, v16
	global_store_dwordx2 v[4:5], v[6:7], off
	v_lshl_add_u64 v[4:5], v[18:19], 3, v[0:1]
	v_add_u32_e32 v3, 0x800, v2
	;; [unrolled: 9-line block ×3, first 2 shown]
	s_waitcnt lgkmcnt(0)
	global_store_dwordx2 v[8:9], v[4:5], off
	v_lshl_add_u64 v[4:5], v[18:19], 3, v[0:1]
	v_cmp_eq_u32_e32 vcc, 39, v16
	global_store_dwordx2 v[4:5], v[6:7], off
	s_and_b64 exec, exec, vcc
	s_cbranch_execz .LBB0_21
; %bb.20:
	ds_read_b64 v[2:3], v2 offset:2888
	s_waitcnt lgkmcnt(0)
	global_store_dwordx2 v[0:1], v[2:3], off offset:3200
.LBB0_21:
	s_endpgm
	.section	.rodata,"a",@progbits
	.p2align	6, 0x0
	.amdhsa_kernel fft_rtc_fwd_len400_factors_4_10_10_wgs_120_tpt_40_halfLds_sp_op_CI_CI_unitstride_sbrr_R2C_dirReg
		.amdhsa_group_segment_fixed_size 0
		.amdhsa_private_segment_fixed_size 0
		.amdhsa_kernarg_size 104
		.amdhsa_user_sgpr_count 2
		.amdhsa_user_sgpr_dispatch_ptr 0
		.amdhsa_user_sgpr_queue_ptr 0
		.amdhsa_user_sgpr_kernarg_segment_ptr 1
		.amdhsa_user_sgpr_dispatch_id 0
		.amdhsa_user_sgpr_kernarg_preload_length 0
		.amdhsa_user_sgpr_kernarg_preload_offset 0
		.amdhsa_user_sgpr_private_segment_size 0
		.amdhsa_uses_dynamic_stack 0
		.amdhsa_enable_private_segment 0
		.amdhsa_system_sgpr_workgroup_id_x 1
		.amdhsa_system_sgpr_workgroup_id_y 0
		.amdhsa_system_sgpr_workgroup_id_z 0
		.amdhsa_system_sgpr_workgroup_info 0
		.amdhsa_system_vgpr_workitem_id 0
		.amdhsa_next_free_vgpr 68
		.amdhsa_next_free_sgpr 28
		.amdhsa_accum_offset 68
		.amdhsa_reserve_vcc 1
		.amdhsa_float_round_mode_32 0
		.amdhsa_float_round_mode_16_64 0
		.amdhsa_float_denorm_mode_32 3
		.amdhsa_float_denorm_mode_16_64 3
		.amdhsa_dx10_clamp 1
		.amdhsa_ieee_mode 1
		.amdhsa_fp16_overflow 0
		.amdhsa_tg_split 0
		.amdhsa_exception_fp_ieee_invalid_op 0
		.amdhsa_exception_fp_denorm_src 0
		.amdhsa_exception_fp_ieee_div_zero 0
		.amdhsa_exception_fp_ieee_overflow 0
		.amdhsa_exception_fp_ieee_underflow 0
		.amdhsa_exception_fp_ieee_inexact 0
		.amdhsa_exception_int_div_zero 0
	.end_amdhsa_kernel
	.text
.Lfunc_end0:
	.size	fft_rtc_fwd_len400_factors_4_10_10_wgs_120_tpt_40_halfLds_sp_op_CI_CI_unitstride_sbrr_R2C_dirReg, .Lfunc_end0-fft_rtc_fwd_len400_factors_4_10_10_wgs_120_tpt_40_halfLds_sp_op_CI_CI_unitstride_sbrr_R2C_dirReg
                                        ; -- End function
	.section	.AMDGPU.csdata,"",@progbits
; Kernel info:
; codeLenInByte = 5912
; NumSgprs: 34
; NumVgprs: 68
; NumAgprs: 0
; TotalNumVgprs: 68
; ScratchSize: 0
; MemoryBound: 0
; FloatMode: 240
; IeeeMode: 1
; LDSByteSize: 0 bytes/workgroup (compile time only)
; SGPRBlocks: 4
; VGPRBlocks: 8
; NumSGPRsForWavesPerEU: 34
; NumVGPRsForWavesPerEU: 68
; AccumOffset: 68
; Occupancy: 7
; WaveLimiterHint : 1
; COMPUTE_PGM_RSRC2:SCRATCH_EN: 0
; COMPUTE_PGM_RSRC2:USER_SGPR: 2
; COMPUTE_PGM_RSRC2:TRAP_HANDLER: 0
; COMPUTE_PGM_RSRC2:TGID_X_EN: 1
; COMPUTE_PGM_RSRC2:TGID_Y_EN: 0
; COMPUTE_PGM_RSRC2:TGID_Z_EN: 0
; COMPUTE_PGM_RSRC2:TIDIG_COMP_CNT: 0
; COMPUTE_PGM_RSRC3_GFX90A:ACCUM_OFFSET: 16
; COMPUTE_PGM_RSRC3_GFX90A:TG_SPLIT: 0
	.text
	.p2alignl 6, 3212836864
	.fill 256, 4, 3212836864
	.type	__hip_cuid_364681358e90d49a,@object ; @__hip_cuid_364681358e90d49a
	.section	.bss,"aw",@nobits
	.globl	__hip_cuid_364681358e90d49a
__hip_cuid_364681358e90d49a:
	.byte	0                               ; 0x0
	.size	__hip_cuid_364681358e90d49a, 1

	.ident	"AMD clang version 19.0.0git (https://github.com/RadeonOpenCompute/llvm-project roc-6.4.0 25133 c7fe45cf4b819c5991fe208aaa96edf142730f1d)"
	.section	".note.GNU-stack","",@progbits
	.addrsig
	.addrsig_sym __hip_cuid_364681358e90d49a
	.amdgpu_metadata
---
amdhsa.kernels:
  - .agpr_count:     0
    .args:
      - .actual_access:  read_only
        .address_space:  global
        .offset:         0
        .size:           8
        .value_kind:     global_buffer
      - .offset:         8
        .size:           8
        .value_kind:     by_value
      - .actual_access:  read_only
        .address_space:  global
        .offset:         16
        .size:           8
        .value_kind:     global_buffer
      - .actual_access:  read_only
        .address_space:  global
        .offset:         24
        .size:           8
        .value_kind:     global_buffer
      - .actual_access:  read_only
        .address_space:  global
        .offset:         32
        .size:           8
        .value_kind:     global_buffer
      - .offset:         40
        .size:           8
        .value_kind:     by_value
      - .actual_access:  read_only
        .address_space:  global
        .offset:         48
        .size:           8
        .value_kind:     global_buffer
      - .actual_access:  read_only
        .address_space:  global
        .offset:         56
        .size:           8
        .value_kind:     global_buffer
      - .offset:         64
        .size:           4
        .value_kind:     by_value
      - .actual_access:  read_only
        .address_space:  global
        .offset:         72
        .size:           8
        .value_kind:     global_buffer
      - .actual_access:  read_only
        .address_space:  global
        .offset:         80
        .size:           8
        .value_kind:     global_buffer
      - .actual_access:  read_only
        .address_space:  global
        .offset:         88
        .size:           8
        .value_kind:     global_buffer
      - .actual_access:  write_only
        .address_space:  global
        .offset:         96
        .size:           8
        .value_kind:     global_buffer
    .group_segment_fixed_size: 0
    .kernarg_segment_align: 8
    .kernarg_segment_size: 104
    .language:       OpenCL C
    .language_version:
      - 2
      - 0
    .max_flat_workgroup_size: 120
    .name:           fft_rtc_fwd_len400_factors_4_10_10_wgs_120_tpt_40_halfLds_sp_op_CI_CI_unitstride_sbrr_R2C_dirReg
    .private_segment_fixed_size: 0
    .sgpr_count:     34
    .sgpr_spill_count: 0
    .symbol:         fft_rtc_fwd_len400_factors_4_10_10_wgs_120_tpt_40_halfLds_sp_op_CI_CI_unitstride_sbrr_R2C_dirReg.kd
    .uniform_work_group_size: 1
    .uses_dynamic_stack: false
    .vgpr_count:     68
    .vgpr_spill_count: 0
    .wavefront_size: 64
amdhsa.target:   amdgcn-amd-amdhsa--gfx950
amdhsa.version:
  - 1
  - 2
...

	.end_amdgpu_metadata
